;; amdgpu-corpus repo=ROCm/rocFFT kind=compiled arch=gfx1030 opt=O3
	.text
	.amdgcn_target "amdgcn-amd-amdhsa--gfx1030"
	.amdhsa_code_object_version 6
	.protected	fft_rtc_fwd_len400_factors_4_10_10_wgs_120_tpt_40_halfLds_dp_op_CI_CI_unitstride_sbrr_R2C_dirReg ; -- Begin function fft_rtc_fwd_len400_factors_4_10_10_wgs_120_tpt_40_halfLds_dp_op_CI_CI_unitstride_sbrr_R2C_dirReg
	.globl	fft_rtc_fwd_len400_factors_4_10_10_wgs_120_tpt_40_halfLds_dp_op_CI_CI_unitstride_sbrr_R2C_dirReg
	.p2align	8
	.type	fft_rtc_fwd_len400_factors_4_10_10_wgs_120_tpt_40_halfLds_dp_op_CI_CI_unitstride_sbrr_R2C_dirReg,@function
fft_rtc_fwd_len400_factors_4_10_10_wgs_120_tpt_40_halfLds_dp_op_CI_CI_unitstride_sbrr_R2C_dirReg: ; @fft_rtc_fwd_len400_factors_4_10_10_wgs_120_tpt_40_halfLds_dp_op_CI_CI_unitstride_sbrr_R2C_dirReg
; %bb.0:
	s_load_dwordx4 s[12:15], s[4:5], 0x0
	v_mul_u32_u24_e32 v1, 0x667, v0
	s_clause 0x1
	s_load_dwordx4 s[8:11], s[4:5], 0x58
	s_load_dwordx4 s[16:19], s[4:5], 0x18
	v_mov_b32_e32 v5, 0
	v_lshrrev_b32_e32 v3, 16, v1
	v_mov_b32_e32 v1, 0
	v_mov_b32_e32 v2, 0
	v_mad_u64_u32 v[3:4], null, s6, 3, v[3:4]
	v_mov_b32_e32 v4, v5
	v_mov_b32_e32 v17, v2
	;; [unrolled: 1-line block ×5, first 2 shown]
	s_waitcnt lgkmcnt(0)
	v_cmp_lt_u64_e64 s0, s[14:15], 2
	s_and_b32 vcc_lo, exec_lo, s0
	s_cbranch_vccnz .LBB0_8
; %bb.1:
	s_load_dwordx2 s[0:1], s[4:5], 0x10
	v_mov_b32_e32 v1, 0
	v_mov_b32_e32 v2, 0
	s_add_u32 s2, s18, 8
	v_mov_b32_e32 v8, v4
	s_addc_u32 s3, s19, 0
	v_mov_b32_e32 v7, v3
	v_mov_b32_e32 v17, v2
	s_add_u32 s6, s16, 8
	v_mov_b32_e32 v16, v1
	s_addc_u32 s7, s17, 0
	s_mov_b64 s[22:23], 1
	s_waitcnt lgkmcnt(0)
	s_add_u32 s20, s0, 8
	s_addc_u32 s21, s1, 0
.LBB0_2:                                ; =>This Inner Loop Header: Depth=1
	s_load_dwordx2 s[24:25], s[20:21], 0x0
                                        ; implicit-def: $vgpr20_vgpr21
	s_mov_b32 s0, exec_lo
	s_waitcnt lgkmcnt(0)
	v_or_b32_e32 v6, s25, v8
	v_cmpx_ne_u64_e32 0, v[5:6]
	s_xor_b32 s1, exec_lo, s0
	s_cbranch_execz .LBB0_4
; %bb.3:                                ;   in Loop: Header=BB0_2 Depth=1
	v_cvt_f32_u32_e32 v4, s24
	v_cvt_f32_u32_e32 v6, s25
	s_sub_u32 s0, 0, s24
	s_subb_u32 s26, 0, s25
	v_fmac_f32_e32 v4, 0x4f800000, v6
	v_rcp_f32_e32 v4, v4
	v_mul_f32_e32 v4, 0x5f7ffffc, v4
	v_mul_f32_e32 v6, 0x2f800000, v4
	v_trunc_f32_e32 v6, v6
	v_fmac_f32_e32 v4, 0xcf800000, v6
	v_cvt_u32_f32_e32 v6, v6
	v_cvt_u32_f32_e32 v4, v4
	v_mul_lo_u32 v9, s0, v6
	v_mul_hi_u32 v10, s0, v4
	v_mul_lo_u32 v11, s26, v4
	v_add_nc_u32_e32 v9, v10, v9
	v_mul_lo_u32 v10, s0, v4
	v_add_nc_u32_e32 v9, v9, v11
	v_mul_hi_u32 v11, v4, v10
	v_mul_lo_u32 v12, v4, v9
	v_mul_hi_u32 v13, v4, v9
	v_mul_hi_u32 v14, v6, v10
	v_mul_lo_u32 v10, v6, v10
	v_mul_hi_u32 v15, v6, v9
	v_mul_lo_u32 v9, v6, v9
	v_add_co_u32 v11, vcc_lo, v11, v12
	v_add_co_ci_u32_e32 v12, vcc_lo, 0, v13, vcc_lo
	v_add_co_u32 v10, vcc_lo, v11, v10
	v_add_co_ci_u32_e32 v10, vcc_lo, v12, v14, vcc_lo
	v_add_co_ci_u32_e32 v11, vcc_lo, 0, v15, vcc_lo
	v_add_co_u32 v9, vcc_lo, v10, v9
	v_add_co_ci_u32_e32 v10, vcc_lo, 0, v11, vcc_lo
	v_add_co_u32 v4, vcc_lo, v4, v9
	v_add_co_ci_u32_e32 v6, vcc_lo, v6, v10, vcc_lo
	v_mul_hi_u32 v9, s0, v4
	v_mul_lo_u32 v11, s26, v4
	v_mul_lo_u32 v10, s0, v6
	v_add_nc_u32_e32 v9, v9, v10
	v_mul_lo_u32 v10, s0, v4
	v_add_nc_u32_e32 v9, v9, v11
	v_mul_hi_u32 v11, v4, v10
	v_mul_lo_u32 v12, v4, v9
	v_mul_hi_u32 v13, v4, v9
	v_mul_hi_u32 v14, v6, v10
	v_mul_lo_u32 v10, v6, v10
	v_mul_hi_u32 v15, v6, v9
	v_mul_lo_u32 v9, v6, v9
	v_add_co_u32 v11, vcc_lo, v11, v12
	v_add_co_ci_u32_e32 v12, vcc_lo, 0, v13, vcc_lo
	v_add_co_u32 v10, vcc_lo, v11, v10
	v_add_co_ci_u32_e32 v10, vcc_lo, v12, v14, vcc_lo
	v_add_co_ci_u32_e32 v11, vcc_lo, 0, v15, vcc_lo
	v_add_co_u32 v9, vcc_lo, v10, v9
	v_add_co_ci_u32_e32 v10, vcc_lo, 0, v11, vcc_lo
	v_add_co_u32 v4, vcc_lo, v4, v9
	v_add_co_ci_u32_e32 v6, vcc_lo, v6, v10, vcc_lo
	v_mul_hi_u32 v15, v7, v4
	v_mad_u64_u32 v[11:12], null, v8, v4, 0
	v_mad_u64_u32 v[9:10], null, v7, v6, 0
	;; [unrolled: 1-line block ×3, first 2 shown]
	v_add_co_u32 v4, vcc_lo, v15, v9
	v_add_co_ci_u32_e32 v6, vcc_lo, 0, v10, vcc_lo
	v_add_co_u32 v4, vcc_lo, v4, v11
	v_add_co_ci_u32_e32 v4, vcc_lo, v6, v12, vcc_lo
	v_add_co_ci_u32_e32 v6, vcc_lo, 0, v14, vcc_lo
	v_add_co_u32 v4, vcc_lo, v4, v13
	v_add_co_ci_u32_e32 v6, vcc_lo, 0, v6, vcc_lo
	v_mul_lo_u32 v11, s25, v4
	v_mad_u64_u32 v[9:10], null, s24, v4, 0
	v_mul_lo_u32 v12, s24, v6
	v_sub_co_u32 v9, vcc_lo, v7, v9
	v_add3_u32 v10, v10, v12, v11
	v_sub_nc_u32_e32 v11, v8, v10
	v_subrev_co_ci_u32_e64 v11, s0, s25, v11, vcc_lo
	v_add_co_u32 v12, s0, v4, 2
	v_add_co_ci_u32_e64 v13, s0, 0, v6, s0
	v_sub_co_u32 v14, s0, v9, s24
	v_sub_co_ci_u32_e32 v10, vcc_lo, v8, v10, vcc_lo
	v_subrev_co_ci_u32_e64 v11, s0, 0, v11, s0
	v_cmp_le_u32_e32 vcc_lo, s24, v14
	v_cmp_eq_u32_e64 s0, s25, v10
	v_cndmask_b32_e64 v14, 0, -1, vcc_lo
	v_cmp_le_u32_e32 vcc_lo, s25, v11
	v_cndmask_b32_e64 v15, 0, -1, vcc_lo
	v_cmp_le_u32_e32 vcc_lo, s24, v9
	;; [unrolled: 2-line block ×3, first 2 shown]
	v_cndmask_b32_e64 v18, 0, -1, vcc_lo
	v_cmp_eq_u32_e32 vcc_lo, s25, v11
	v_cndmask_b32_e64 v9, v18, v9, s0
	v_cndmask_b32_e32 v11, v15, v14, vcc_lo
	v_add_co_u32 v14, vcc_lo, v4, 1
	v_add_co_ci_u32_e32 v15, vcc_lo, 0, v6, vcc_lo
	v_cmp_ne_u32_e32 vcc_lo, 0, v11
	v_cndmask_b32_e32 v10, v15, v13, vcc_lo
	v_cndmask_b32_e32 v11, v14, v12, vcc_lo
	v_cmp_ne_u32_e32 vcc_lo, 0, v9
	v_cndmask_b32_e32 v21, v6, v10, vcc_lo
	v_cndmask_b32_e32 v20, v4, v11, vcc_lo
.LBB0_4:                                ;   in Loop: Header=BB0_2 Depth=1
	s_andn2_saveexec_b32 s0, s1
	s_cbranch_execz .LBB0_6
; %bb.5:                                ;   in Loop: Header=BB0_2 Depth=1
	v_cvt_f32_u32_e32 v4, s24
	s_sub_i32 s1, 0, s24
	v_mov_b32_e32 v21, v5
	v_rcp_iflag_f32_e32 v4, v4
	v_mul_f32_e32 v4, 0x4f7ffffe, v4
	v_cvt_u32_f32_e32 v4, v4
	v_mul_lo_u32 v6, s1, v4
	v_mul_hi_u32 v6, v4, v6
	v_add_nc_u32_e32 v4, v4, v6
	v_mul_hi_u32 v4, v7, v4
	v_mul_lo_u32 v6, v4, s24
	v_add_nc_u32_e32 v9, 1, v4
	v_sub_nc_u32_e32 v6, v7, v6
	v_subrev_nc_u32_e32 v10, s24, v6
	v_cmp_le_u32_e32 vcc_lo, s24, v6
	v_cndmask_b32_e32 v6, v6, v10, vcc_lo
	v_cndmask_b32_e32 v4, v4, v9, vcc_lo
	v_cmp_le_u32_e32 vcc_lo, s24, v6
	v_add_nc_u32_e32 v9, 1, v4
	v_cndmask_b32_e32 v20, v4, v9, vcc_lo
.LBB0_6:                                ;   in Loop: Header=BB0_2 Depth=1
	s_or_b32 exec_lo, exec_lo, s0
	v_mul_lo_u32 v4, v21, s24
	v_mul_lo_u32 v6, v20, s25
	s_load_dwordx2 s[0:1], s[6:7], 0x0
	v_mad_u64_u32 v[9:10], null, v20, s24, 0
	s_load_dwordx2 s[24:25], s[2:3], 0x0
	s_add_u32 s22, s22, 1
	s_addc_u32 s23, s23, 0
	s_add_u32 s2, s2, 8
	s_addc_u32 s3, s3, 0
	s_add_u32 s6, s6, 8
	v_add3_u32 v4, v10, v6, v4
	v_sub_co_u32 v6, vcc_lo, v7, v9
	s_addc_u32 s7, s7, 0
	s_add_u32 s20, s20, 8
	v_sub_co_ci_u32_e32 v4, vcc_lo, v8, v4, vcc_lo
	s_addc_u32 s21, s21, 0
	s_waitcnt lgkmcnt(0)
	v_mul_lo_u32 v7, s0, v4
	v_mul_lo_u32 v8, s1, v6
	v_mad_u64_u32 v[1:2], null, s0, v6, v[1:2]
	v_mul_lo_u32 v4, s24, v4
	v_mul_lo_u32 v9, s25, v6
	v_mad_u64_u32 v[16:17], null, s24, v6, v[16:17]
	v_cmp_ge_u64_e64 s0, s[22:23], s[14:15]
	v_add3_u32 v2, v8, v2, v7
	v_add3_u32 v17, v9, v17, v4
	s_and_b32 vcc_lo, exec_lo, s0
	s_cbranch_vccnz .LBB0_8
; %bb.7:                                ;   in Loop: Header=BB0_2 Depth=1
	v_mov_b32_e32 v7, v20
	v_mov_b32_e32 v8, v21
	s_branch .LBB0_2
.LBB0_8:
	s_load_dwordx2 s[0:1], s[4:5], 0x28
	v_mul_hi_u32 v4, 0xaaaaaaab, v3
	s_lshl_b64 s[4:5], s[14:15], 3
                                        ; implicit-def: $vgpr18
                                        ; implicit-def: $vgpr22
                                        ; implicit-def: $vgpr24
	s_add_u32 s2, s18, s4
	s_addc_u32 s3, s19, s5
	v_lshrrev_b32_e32 v4, 1, v4
	v_lshl_add_u32 v5, v4, 1, v4
	v_mul_hi_u32 v4, 0x6666667, v0
	v_sub_nc_u32_e32 v3, v3, v5
	s_waitcnt lgkmcnt(0)
	v_cmp_gt_u64_e32 vcc_lo, s[0:1], v[20:21]
	v_cmp_le_u64_e64 s0, s[0:1], v[20:21]
	s_and_saveexec_b32 s1, s0
	s_xor_b32 s0, exec_lo, s1
; %bb.9:
	v_mul_u32_u24_e32 v1, 40, v4
                                        ; implicit-def: $vgpr4
	v_sub_nc_u32_e32 v18, v0, v1
                                        ; implicit-def: $vgpr0
                                        ; implicit-def: $vgpr1_vgpr2
	v_add_nc_u32_e32 v22, 40, v18
	v_add_nc_u32_e32 v24, 0x50, v18
; %bb.10:
	s_or_saveexec_b32 s1, s0
	v_mul_u32_u24_e32 v3, 0x191, v3
	v_lshlrev_b32_e32 v25, 4, v3
	s_xor_b32 exec_lo, exec_lo, s1
	s_cbranch_execz .LBB0_12
; %bb.11:
	s_add_u32 s4, s16, s4
	s_addc_u32 s5, s17, s5
	v_lshlrev_b64 v[1:2], 4, v[1:2]
	s_load_dwordx2 s[4:5], s[4:5], 0x0
	s_waitcnt lgkmcnt(0)
	v_mul_lo_u32 v3, s5, v20
	v_mul_lo_u32 v7, s4, v21
	v_mad_u64_u32 v[5:6], null, s4, v20, 0
	v_add3_u32 v6, v6, v7, v3
	v_mul_u32_u24_e32 v7, 40, v4
	v_lshlrev_b64 v[3:4], 4, v[5:6]
	v_sub_nc_u32_e32 v18, v0, v7
	v_lshlrev_b32_e32 v19, 4, v18
	v_add_co_u32 v0, s0, s8, v3
	v_add_co_ci_u32_e64 v3, s0, s9, v4, s0
	v_add_nc_u32_e32 v24, 0x50, v18
	v_add_co_u32 v0, s0, v0, v1
	v_add_co_ci_u32_e64 v1, s0, v3, v2, s0
	v_or_b32_e32 v2, 0x1400, v19
	v_add_co_u32 v22, s0, v0, v19
	v_add_co_ci_u32_e64 v23, s0, 0, v1, s0
	v_add_co_u32 v26, s0, v0, v2
	v_add_co_ci_u32_e64 v27, s0, 0, v1, s0
	;; [unrolled: 2-line block ×3, first 2 shown]
	s_clause 0x3
	global_load_dwordx4 v[0:3], v[22:23], off
	global_load_dwordx4 v[4:7], v[22:23], off offset:640
	global_load_dwordx4 v[8:11], v[22:23], off offset:1280
	;; [unrolled: 1-line block ×3, first 2 shown]
	v_add_co_u32 v22, s0, 0x1000, v22
	v_add_co_ci_u32_e64 v23, s0, 0, v23, s0
	s_clause 0x5
	global_load_dwordx4 v[26:29], v[26:27], off
	global_load_dwordx4 v[30:33], v[38:39], off offset:512
	global_load_dwordx4 v[34:37], v[38:39], off offset:1152
	global_load_dwordx4 v[38:41], v[38:39], off offset:1792
	global_load_dwordx4 v[42:45], v[22:23], off offset:384
	global_load_dwordx4 v[46:49], v[22:23], off offset:1664
	v_add3_u32 v19, 0, v25, v19
	v_add_nc_u32_e32 v22, 40, v18
	s_waitcnt vmcnt(9)
	ds_write_b128 v19, v[0:3]
	s_waitcnt vmcnt(8)
	ds_write_b128 v19, v[4:7] offset:640
	s_waitcnt vmcnt(7)
	ds_write_b128 v19, v[8:11] offset:1280
	;; [unrolled: 2-line block ×9, first 2 shown]
.LBB0_12:
	s_or_b32 exec_lo, exec_lo, s1
	v_lshlrev_b32_e32 v19, 4, v18
	v_add_nc_u32_e32 v26, 0, v25
	s_load_dwordx2 s[2:3], s[2:3], 0x0
	s_waitcnt lgkmcnt(0)
	s_barrier
	v_add3_u32 v23, 0, v19, v25
	v_add_nc_u32_e32 v27, v26, v19
	buffer_gl0_inv
	s_mov_b32 s1, exec_lo
	ds_read_b128 v[28:31], v23 offset:3200
	ds_read_b128 v[32:35], v27
	ds_read_b128 v[36:39], v23 offset:1600
	ds_read_b128 v[40:43], v23 offset:4800
	;; [unrolled: 1-line block ×10, first 2 shown]
	s_waitcnt lgkmcnt(0)
	s_barrier
	buffer_gl0_inv
	v_add_f64 v[60:61], v[32:33], -v[28:29]
	v_add_f64 v[62:63], v[34:35], -v[30:31]
	v_add_f64 v[40:41], v[36:37], -v[40:41]
	v_add_f64 v[28:29], v[38:39], -v[42:43]
	v_add_f64 v[64:65], v[44:45], -v[48:49]
	v_add_f64 v[66:67], v[46:47], -v[50:51]
	v_add_f64 v[48:49], v[52:53], -v[56:57]
	v_add_f64 v[42:43], v[54:55], -v[58:59]
	v_fma_f64 v[56:57], v[32:33], 2.0, -v[60:61]
	v_fma_f64 v[58:59], v[34:35], 2.0, -v[62:63]
	;; [unrolled: 1-line block ×8, first 2 shown]
	v_add_f64 v[29:30], v[60:61], -v[28:29]
	v_add_f64 v[31:32], v[62:63], v[40:41]
	v_add_f64 v[33:34], v[64:65], -v[42:43]
	v_lshl_add_u32 v28, v22, 6, 0
	v_add_f64 v[37:38], v[56:57], -v[35:36]
	v_add_f64 v[39:40], v[58:59], -v[50:51]
	v_add_f64 v[35:36], v[66:67], v[48:49]
	v_add_f64 v[41:42], v[68:69], -v[44:45]
	v_add_f64 v[43:44], v[70:71], -v[46:47]
	v_fma_f64 v[45:46], v[60:61], 2.0, -v[29:30]
	v_fma_f64 v[47:48], v[62:63], 2.0, -v[31:32]
	;; [unrolled: 1-line block ×3, first 2 shown]
	v_mad_u32_u24 v61, v18, 48, v23
	v_add_nc_u32_e32 v62, v28, v25
	v_fma_f64 v[53:54], v[56:57], 2.0, -v[37:38]
	v_fma_f64 v[55:56], v[58:59], 2.0, -v[39:40]
	;; [unrolled: 1-line block ×5, first 2 shown]
	ds_write_b128 v61, v[29:32] offset:48
	ds_write_b128 v61, v[45:48] offset:16
	;; [unrolled: 1-line block ×3, first 2 shown]
	ds_write_b128 v61, v[53:56]
	ds_write_b128 v62, v[57:60]
	ds_write_b128 v62, v[49:52] offset:16
	ds_write_b128 v62, v[41:44] offset:32
	;; [unrolled: 1-line block ×3, first 2 shown]
	v_cmpx_gt_u32_e32 20, v18
	s_cbranch_execz .LBB0_14
; %bb.13:
	v_add_f64 v[10:11], v[2:3], -v[10:11]
	v_add_f64 v[14:15], v[6:7], -v[14:15]
	;; [unrolled: 1-line block ×4, first 2 shown]
	v_fma_f64 v[29:30], v[2:3], 2.0, -v[10:11]
	v_fma_f64 v[6:7], v[6:7], 2.0, -v[14:15]
	;; [unrolled: 1-line block ×4, first 2 shown]
	v_add_f64 v[2:3], v[10:11], v[12:13]
	v_add_f64 v[0:1], v[8:9], -v[14:15]
	v_add_f64 v[6:7], v[29:30], -v[6:7]
	;; [unrolled: 1-line block ×3, first 2 shown]
	v_fma_f64 v[10:11], v[10:11], 2.0, -v[2:3]
	v_fma_f64 v[8:9], v[8:9], 2.0, -v[0:1]
	;; [unrolled: 1-line block ×3, first 2 shown]
	v_lshlrev_b32_e32 v29, 6, v24
	v_fma_f64 v[12:13], v[31:32], 2.0, -v[4:5]
	v_add3_u32 v29, 0, v29, v25
	ds_write_b128 v29, v[8:11] offset:16
	ds_write_b128 v29, v[4:7] offset:32
	ds_write_b128 v29, v[12:15]
	ds_write_b128 v29, v[0:3] offset:48
.LBB0_14:
	s_or_b32 exec_lo, exec_lo, s1
	v_and_b32_e32 v2, 3, v18
	s_waitcnt lgkmcnt(0)
	s_barrier
	buffer_gl0_inv
	s_mov_b32 s4, 0x134454ff
	v_mul_u32_u24_e32 v0, 9, v2
	s_mov_b32 s5, 0x3fee6f0e
	s_mov_b32 s1, 0xbfee6f0e
	;; [unrolled: 1-line block ×4, first 2 shown]
	v_lshlrev_b32_e32 v0, 4, v0
	s_mov_b32 s9, 0x3fe2cf23
	s_mov_b32 s7, 0xbfe2cf23
	;; [unrolled: 1-line block ×4, first 2 shown]
	s_clause 0x8
	global_load_dwordx4 v[3:6], v0, s[12:13] offset:16
	global_load_dwordx4 v[7:10], v0, s[12:13] offset:48
	;; [unrolled: 1-line block ×8, first 2 shown]
	global_load_dwordx4 v[49:52], v0, s[12:13]
	v_lshlrev_b32_e32 v0, 4, v24
	s_mov_b32 s15, 0x3fd3c6ef
	s_mov_b32 s16, 0x9b97f4a8
	;; [unrolled: 1-line block ×3, first 2 shown]
	v_add3_u32 v1, 0, v0, v25
	v_mul_i32_i24_e32 v0, 0xffffffd0, v22
	ds_read_b128 v[53:56], v1
	ds_read_b128 v[57:60], v23 offset:2560
	ds_read_b128 v[61:64], v23 offset:3840
	;; [unrolled: 1-line block ×5, first 2 shown]
	v_add3_u32 v0, v28, v0, v25
	ds_read_b128 v[77:80], v23 offset:1920
	s_waitcnt vmcnt(8) lgkmcnt(6)
	v_mul_f64 v[81:82], v[55:56], v[5:6]
	v_mul_f64 v[5:6], v[53:54], v[5:6]
	s_waitcnt vmcnt(7) lgkmcnt(5)
	v_mul_f64 v[83:84], v[59:60], v[9:10]
	v_mul_f64 v[9:10], v[57:58], v[9:10]
	;; [unrolled: 3-line block ×3, first 2 shown]
	v_fma_f64 v[53:54], v[53:54], v[3:4], -v[81:82]
	v_fma_f64 v[55:56], v[55:56], v[3:4], v[5:6]
	ds_read_b128 v[3:6], v23 offset:5760
	s_waitcnt vmcnt(5) lgkmcnt(4)
	v_mul_f64 v[81:82], v[67:68], v[31:32]
	v_mul_f64 v[31:32], v[65:66], v[31:32]
	v_fma_f64 v[57:58], v[57:58], v[7:8], -v[83:84]
	s_waitcnt vmcnt(4) lgkmcnt(3)
	v_mul_f64 v[83:84], v[71:72], v[35:36]
	s_waitcnt vmcnt(3) lgkmcnt(2)
	v_mul_f64 v[87:88], v[75:76], v[39:40]
	v_fma_f64 v[59:60], v[59:60], v[7:8], v[9:10]
	ds_read_b128 v[7:10], v0
	v_fma_f64 v[61:62], v[61:62], v[11:12], -v[85:86]
	s_waitcnt vmcnt(2) lgkmcnt(2)
	v_mul_f64 v[85:86], v[79:80], v[43:44]
	v_mul_f64 v[43:44], v[77:78], v[43:44]
	;; [unrolled: 1-line block ×4, first 2 shown]
	v_fma_f64 v[63:64], v[63:64], v[11:12], v[13:14]
	ds_read_b128 v[11:14], v27
	s_waitcnt vmcnt(0) lgkmcnt(0)
	s_barrier
	buffer_gl0_inv
	v_mul_f64 v[89:90], v[5:6], v[47:48]
	v_fma_f64 v[65:66], v[65:66], v[29:30], -v[81:82]
	v_fma_f64 v[28:29], v[67:68], v[29:30], v[31:32]
	v_mul_f64 v[30:31], v[3:4], v[47:48]
	v_fma_f64 v[67:68], v[69:70], v[33:34], -v[83:84]
	v_mul_f64 v[47:48], v[9:10], v[51:52]
	v_fma_f64 v[69:70], v[73:74], v[37:38], -v[87:88]
	v_fma_f64 v[73:74], v[77:78], v[41:42], -v[85:86]
	v_fma_f64 v[41:42], v[79:80], v[41:42], v[43:44]
	v_mul_f64 v[43:44], v[7:8], v[51:52]
	v_add_f64 v[51:52], v[53:54], -v[57:58]
	v_fma_f64 v[3:4], v[3:4], v[45:46], -v[89:90]
	v_add_f64 v[89:90], v[13:14], v[55:56]
	v_add_f64 v[77:78], v[61:62], -v[65:66]
	v_fma_f64 v[5:6], v[5:6], v[45:46], v[30:31]
	v_fma_f64 v[30:31], v[71:72], v[33:34], v[35:36]
	;; [unrolled: 1-line block ×3, first 2 shown]
	v_fma_f64 v[7:8], v[7:8], v[49:50], -v[47:48]
	v_add_f64 v[34:35], v[57:58], v[61:62]
	v_add_f64 v[36:37], v[53:54], v[65:66]
	;; [unrolled: 1-line block ×5, first 2 shown]
	v_add_f64 v[71:72], v[65:66], -v[61:62]
	v_add_f64 v[79:80], v[73:74], -v[67:68]
	v_fma_f64 v[9:10], v[9:10], v[49:50], v[43:44]
	v_add_f64 v[49:50], v[11:12], v[53:54]
	v_add_f64 v[75:76], v[57:58], -v[53:54]
	v_add_f64 v[83:84], v[67:68], -v[73:74]
	;; [unrolled: 1-line block ×4, first 2 shown]
	v_add_f64 v[85:86], v[73:74], v[3:4]
	v_add_f64 v[87:88], v[69:70], -v[3:4]
	v_add_f64 v[89:90], v[89:90], v[59:60]
	v_add_f64 v[43:44], v[41:42], v[5:6]
	v_add_f64 v[93:94], v[41:42], -v[5:6]
	v_add_f64 v[91:92], v[30:31], v[32:33]
	v_fma_f64 v[34:35], v[34:35], -0.5, v[11:12]
	v_fma_f64 v[11:12], v[36:37], -0.5, v[11:12]
	;; [unrolled: 1-line block ×5, first 2 shown]
	v_add_f64 v[45:46], v[41:42], -v[30:31]
	v_add_f64 v[47:48], v[5:6], -v[32:33]
	v_add_f64 v[51:52], v[51:52], v[71:72]
	v_add_f64 v[71:72], v[30:31], -v[41:42]
	v_add_f64 v[40:41], v[9:10], v[41:42]
	v_add_f64 v[75:76], v[75:76], v[77:78]
	v_add_f64 v[77:78], v[32:33], -v[5:6]
	v_add_f64 v[49:50], v[49:50], v[57:58]
	v_add_f64 v[79:80], v[79:80], v[81:82]
	v_add_f64 v[81:82], v[30:31], -v[32:33]
	v_fma_f64 v[85:86], v[85:86], -0.5, v[7:8]
	v_add_f64 v[7:8], v[7:8], v[73:74]
	v_add_f64 v[73:74], v[73:74], -v[3:4]
	v_fma_f64 v[43:44], v[43:44], -0.5, v[9:10]
	v_add_f64 v[83:84], v[83:84], v[87:88]
	v_fma_f64 v[9:10], v[91:92], -0.5, v[9:10]
	v_add_f64 v[87:88], v[67:68], -v[69:70]
	v_add_f64 v[57:58], v[57:58], -v[61:62]
	v_fma_f64 v[91:92], v[93:94], s[4:5], v[36:37]
	v_fma_f64 v[36:37], v[93:94], s[0:1], v[36:37]
	v_add_f64 v[45:46], v[45:46], v[47:48]
	v_add_f64 v[30:31], v[40:41], v[30:31]
	;; [unrolled: 1-line block ×5, first 2 shown]
	v_fma_f64 v[47:48], v[81:82], s[0:1], v[85:86]
	v_fma_f64 v[85:86], v[81:82], s[4:5], v[85:86]
	v_add_f64 v[7:8], v[7:8], v[67:68]
	v_add_f64 v[67:68], v[28:29], -v[63:64]
	v_fma_f64 v[77:78], v[87:88], s[4:5], v[43:44]
	v_fma_f64 v[42:43], v[87:88], s[0:1], v[43:44]
	;; [unrolled: 1-line block ×6, first 2 shown]
	v_add_f64 v[30:31], v[30:31], v[32:33]
	v_add_f64 v[49:50], v[49:50], v[65:66]
	v_fma_f64 v[47:48], v[93:94], s[8:9], v[47:48]
	v_fma_f64 v[85:86], v[93:94], s[6:7], v[85:86]
	v_add_f64 v[93:94], v[55:56], -v[28:29]
	v_add_f64 v[7:8], v[7:8], v[69:70]
	v_fma_f64 v[77:78], v[73:74], s[6:7], v[77:78]
	v_fma_f64 v[42:43], v[73:74], s[8:9], v[42:43]
	v_add_f64 v[73:74], v[55:56], -v[59:60]
	v_add_f64 v[55:56], v[59:60], -v[55:56]
	;; [unrolled: 1-line block ×3, first 2 shown]
	v_fma_f64 v[81:82], v[87:88], s[6:7], v[81:82]
	v_fma_f64 v[9:10], v[87:88], s[8:9], v[9:10]
	;; [unrolled: 1-line block ×3, first 2 shown]
	v_add_f64 v[87:88], v[63:64], -v[28:29]
	v_fma_f64 v[36:37], v[79:80], s[14:15], v[36:37]
	v_add_f64 v[28:29], v[61:62], v[28:29]
	v_add_f64 v[30:31], v[30:31], v[5:6]
	v_fma_f64 v[47:48], v[83:84], s[14:15], v[47:48]
	v_fma_f64 v[85:86], v[83:84], s[14:15], v[85:86]
	;; [unrolled: 1-line block ×14, first 2 shown]
	v_add_f64 v[44:45], v[73:74], v[67:68]
	v_mul_f64 v[67:68], v[91:92], s[6:7]
	v_add_f64 v[55:56], v[55:56], v[87:88]
	v_add_f64 v[7:8], v[7:8], v[3:4]
	v_lshrrev_b32_e32 v87, 2, v18
	v_add_f64 v[4:5], v[28:29], v[30:31]
	v_mul_f64 v[73:74], v[47:48], s[0:1]
	v_mul_u32_u24_e32 v3, 40, v87
	v_fma_f64 v[32:33], v[59:60], s[8:9], v[40:41]
	v_fma_f64 v[34:35], v[59:60], s[6:7], v[34:35]
	;; [unrolled: 1-line block ×4, first 2 shown]
	v_mul_f64 v[57:58], v[42:43], s[14:15]
	v_fma_f64 v[69:70], v[53:54], s[6:7], v[71:72]
	v_mul_f64 v[71:72], v[77:78], s[4:5]
	v_fma_f64 v[40:41], v[93:94], s[8:9], v[79:80]
	;; [unrolled: 2-line block ×3, first 2 shown]
	v_fma_f64 v[13:14], v[53:54], s[8:9], v[13:14]
	v_mul_f64 v[53:54], v[85:86], s[14:15]
	v_mul_f64 v[79:80], v[36:37], s[16:17]
	;; [unrolled: 1-line block ×3, first 2 shown]
	v_fma_f64 v[32:33], v[51:52], s[14:15], v[32:33]
	v_fma_f64 v[61:62], v[51:52], s[14:15], v[34:35]
	;; [unrolled: 1-line block ×5, first 2 shown]
	v_fma_f64 v[57:58], v[85:86], s[0:1], -v[57:58]
	v_fma_f64 v[65:66], v[55:56], s[14:15], v[69:70]
	v_fma_f64 v[46:47], v[47:48], s[14:15], v[71:72]
	;; [unrolled: 1-line block ×6, first 2 shown]
	v_fma_f64 v[53:54], v[42:43], s[4:5], -v[53:54]
	v_fma_f64 v[55:56], v[44:45], s[14:15], v[38:39]
	v_fma_f64 v[69:70], v[9:10], s[8:9], -v[79:80]
	v_fma_f64 v[71:72], v[36:37], s[6:7], -v[83:84]
	v_or_b32_e32 v73, v3, v2
	v_add_f64 v[2:3], v[49:50], v[7:8]
	v_add_f64 v[6:7], v[49:50], -v[7:8]
	v_add_f64 v[8:9], v[28:29], -v[30:31]
	v_add_f64 v[12:13], v[34:35], v[59:60]
	v_add_f64 v[30:31], v[34:35], -v[59:60]
	v_add_f64 v[34:35], v[65:66], v[67:68]
	v_add_f64 v[38:39], v[65:66], -v[67:68]
	v_add_f64 v[36:37], v[40:41], -v[46:47]
	v_add_f64 v[10:11], v[32:33], v[51:52]
	v_add_f64 v[28:29], v[32:33], -v[51:52]
	v_add_f64 v[32:33], v[40:41], v[46:47]
	v_add_f64 v[40:41], v[63:64], v[53:54]
	;; [unrolled: 1-line block ×5, first 2 shown]
	v_add_f64 v[48:49], v[63:64], -v[53:54]
	v_add_f64 v[50:51], v[14:15], -v[57:58]
	;; [unrolled: 1-line block ×4, first 2 shown]
	v_lshlrev_b32_e32 v14, 4, v73
	v_mul_u32_u24_e32 v15, 9, v18
	v_add3_u32 v14, 0, v14, v25
	v_lshlrev_b32_e32 v15, 4, v15
	ds_write_b128 v14, v[2:5]
	ds_write_b128 v14, v[6:9] offset:320
	ds_write_b128 v14, v[10:13] offset:64
	;; [unrolled: 1-line block ×9, first 2 shown]
	s_waitcnt lgkmcnt(0)
	s_barrier
	buffer_gl0_inv
	s_clause 0x8
	global_load_dwordx4 v[2:5], v15, s[12:13] offset:592
	global_load_dwordx4 v[6:9], v15, s[12:13] offset:624
	;; [unrolled: 1-line block ×9, first 2 shown]
	ds_read_b128 v[52:55], v1
	ds_read_b128 v[56:59], v23 offset:2560
	ds_read_b128 v[60:63], v23 offset:3840
	;; [unrolled: 1-line block ×7, first 2 shown]
	s_waitcnt vmcnt(8) lgkmcnt(7)
	v_mul_f64 v[14:15], v[54:55], v[4:5]
	v_mul_f64 v[4:5], v[52:53], v[4:5]
	s_waitcnt vmcnt(7) lgkmcnt(6)
	v_mul_f64 v[84:85], v[58:59], v[8:9]
	v_mul_f64 v[8:9], v[56:57], v[8:9]
	s_waitcnt vmcnt(6) lgkmcnt(5)
	v_mul_f64 v[86:87], v[62:63], v[12:13]
	v_mul_f64 v[12:13], v[60:61], v[12:13]
	v_fma_f64 v[14:15], v[52:53], v[2:3], -v[14:15]
	v_fma_f64 v[52:53], v[54:55], v[2:3], v[4:5]
	s_waitcnt vmcnt(5) lgkmcnt(4)
	v_mul_f64 v[54:55], v[66:67], v[30:31]
	v_mul_f64 v[30:31], v[64:65], v[30:31]
	v_fma_f64 v[56:57], v[56:57], v[6:7], -v[84:85]
	v_fma_f64 v[8:9], v[58:59], v[6:7], v[8:9]
	s_waitcnt vmcnt(4) lgkmcnt(0)
	v_mul_f64 v[58:59], v[82:83], v[34:35]
	v_mul_f64 v[34:35], v[80:81], v[34:35]
	s_waitcnt vmcnt(3)
	v_mul_f64 v[84:85], v[78:79], v[38:39]
	v_fma_f64 v[60:61], v[60:61], v[10:11], -v[86:87]
	v_fma_f64 v[10:11], v[62:63], v[10:11], v[12:13]
	s_waitcnt vmcnt(2)
	v_mul_f64 v[12:13], v[70:71], v[42:43]
	v_mul_f64 v[42:43], v[68:69], v[42:43]
	s_waitcnt vmcnt(1)
	v_mul_f64 v[62:63], v[74:75], v[46:47]
	v_mul_f64 v[46:47], v[72:73], v[46:47]
	ds_read_b128 v[0:3], v0
	ds_read_b128 v[4:7], v27
	s_waitcnt vmcnt(0) lgkmcnt(0)
	s_barrier
	buffer_gl0_inv
	v_fma_f64 v[54:55], v[64:65], v[28:29], -v[54:55]
	v_fma_f64 v[28:29], v[66:67], v[28:29], v[30:31]
	v_mul_f64 v[30:31], v[76:77], v[38:39]
	v_fma_f64 v[58:59], v[80:81], v[32:33], -v[58:59]
	v_fma_f64 v[32:33], v[82:83], v[32:33], v[34:35]
	v_fma_f64 v[64:65], v[76:77], v[36:37], -v[84:85]
	v_add_f64 v[76:77], v[56:57], -v[14:15]
	v_fma_f64 v[12:13], v[68:69], v[40:41], -v[12:13]
	v_fma_f64 v[34:35], v[70:71], v[40:41], v[42:43]
	v_mul_f64 v[38:39], v[2:3], v[50:51]
	v_mul_f64 v[50:51], v[0:1], v[50:51]
	v_fma_f64 v[62:63], v[72:73], v[44:45], -v[62:63]
	v_fma_f64 v[40:41], v[74:75], v[44:45], v[46:47]
	v_add_f64 v[42:43], v[8:9], v[10:11]
	v_add_f64 v[68:69], v[4:5], v[14:15]
	;; [unrolled: 1-line block ×3, first 2 shown]
	v_add_f64 v[66:67], v[54:55], -v[60:61]
	v_add_f64 v[44:45], v[52:53], v[28:29]
	v_fma_f64 v[30:31], v[78:79], v[36:37], v[30:31]
	v_add_f64 v[36:37], v[56:57], v[60:61]
	v_add_f64 v[78:79], v[60:61], -v[54:55]
	v_add_f64 v[46:47], v[58:59], v[64:65]
	v_add_f64 v[80:81], v[58:59], -v[12:13]
	v_add_f64 v[84:85], v[12:13], -v[58:59]
	v_fma_f64 v[0:1], v[0:1], v[48:49], -v[38:39]
	v_add_f64 v[38:39], v[14:15], v[54:55]
	v_fma_f64 v[2:3], v[2:3], v[48:49], v[50:51]
	v_add_f64 v[50:51], v[12:13], v[62:63]
	v_add_f64 v[70:71], v[34:35], v[40:41]
	v_add_f64 v[48:49], v[14:15], -v[56:57]
	v_add_f64 v[82:83], v[64:65], -v[62:63]
	;; [unrolled: 1-line block ×6, first 2 shown]
	v_add_f64 v[68:69], v[68:69], v[56:57]
	v_add_f64 v[56:57], v[56:57], -v[60:61]
	v_add_f64 v[72:73], v[32:33], v[30:31]
	v_add_f64 v[90:91], v[30:31], -v[40:41]
	v_fma_f64 v[36:37], v[36:37], -0.5, v[4:5]
	v_add_f64 v[76:77], v[76:77], v[78:79]
	v_fma_f64 v[4:5], v[38:39], -0.5, v[4:5]
	v_fma_f64 v[38:39], v[42:43], -0.5, v[6:7]
	;; [unrolled: 1-line block ×4, first 2 shown]
	v_add_f64 v[44:45], v[0:1], v[58:59]
	v_add_f64 v[46:47], v[12:13], -v[62:63]
	v_fma_f64 v[0:1], v[50:51], -0.5, v[0:1]
	v_add_f64 v[50:51], v[32:33], -v[30:31]
	v_add_f64 v[58:59], v[58:59], -v[64:65]
	v_fma_f64 v[70:71], v[70:71], -0.5, v[2:3]
	v_add_f64 v[48:49], v[48:49], v[66:67]
	v_add_f64 v[66:67], v[40:41], -v[30:31]
	v_fma_f64 v[72:73], v[72:73], -0.5, v[2:3]
	v_add_f64 v[2:3], v[2:3], v[32:33]
	v_add_f64 v[32:33], v[34:35], -v[32:33]
	v_add_f64 v[80:81], v[80:81], v[82:83]
	v_add_f64 v[82:83], v[84:85], v[86:87]
	;; [unrolled: 1-line block ×4, first 2 shown]
	v_fma_f64 v[78:79], v[92:93], s[0:1], v[42:43]
	v_fma_f64 v[42:43], v[92:93], s[4:5], v[42:43]
	v_add_f64 v[12:13], v[44:45], v[12:13]
	v_fma_f64 v[86:87], v[50:51], s[4:5], v[0:1]
	v_fma_f64 v[0:1], v[50:51], s[0:1], v[0:1]
	;; [unrolled: 1-line block ×6, first 2 shown]
	v_add_f64 v[32:33], v[32:33], v[66:67]
	v_add_f64 v[66:67], v[52:53], -v[28:29]
	v_add_f64 v[2:3], v[2:3], v[34:35]
	v_add_f64 v[54:55], v[60:61], v[54:55]
	v_fma_f64 v[78:79], v[50:51], s[8:9], v[78:79]
	v_fma_f64 v[42:43], v[50:51], s[6:7], v[42:43]
	v_add_f64 v[50:51], v[8:9], -v[10:11]
	v_fma_f64 v[86:87], v[92:93], s[8:9], v[86:87]
	v_fma_f64 v[0:1], v[92:93], s[6:7], v[0:1]
	;; [unrolled: 1-line block ×4, first 2 shown]
	v_add_f64 v[92:93], v[52:53], -v[8:9]
	v_fma_f64 v[90:91], v[58:59], s[6:7], v[90:91]
	v_fma_f64 v[58:59], v[58:59], s[8:9], v[72:73]
	v_add_f64 v[52:53], v[8:9], -v[52:53]
	v_add_f64 v[8:9], v[74:75], v[8:9]
	v_add_f64 v[72:73], v[28:29], -v[10:11]
	v_fma_f64 v[34:35], v[66:67], s[4:5], v[36:37]
	v_fma_f64 v[36:37], v[66:67], s[0:1], v[36:37]
	v_fma_f64 v[74:75], v[14:15], s[0:1], v[38:39]
	v_add_f64 v[70:71], v[10:11], -v[28:29]
	v_fma_f64 v[38:39], v[14:15], s[4:5], v[38:39]
	v_add_f64 v[2:3], v[2:3], v[40:41]
	v_fma_f64 v[78:79], v[82:83], s[14:15], v[78:79]
	v_fma_f64 v[42:43], v[82:83], s[14:15], v[42:43]
	;; [unrolled: 1-line block ×12, first 2 shown]
	v_add_f64 v[8:9], v[8:9], v[10:11]
	v_add_f64 v[10:11], v[12:13], v[62:63]
	;; [unrolled: 1-line block ×3, first 2 shown]
	v_fma_f64 v[12:13], v[50:51], s[8:9], v[34:35]
	v_fma_f64 v[34:35], v[50:51], s[6:7], v[36:37]
	;; [unrolled: 1-line block ×3, first 2 shown]
	v_add_f64 v[52:53], v[52:53], v[70:71]
	v_fma_f64 v[38:39], v[56:57], s[8:9], v[38:39]
	v_mul_f64 v[70:71], v[78:79], s[0:1]
	v_mul_f64 v[68:69], v[42:43], s[14:15]
	v_fma_f64 v[36:37], v[66:67], s[8:9], v[44:45]
	v_fma_f64 v[4:5], v[66:67], s[6:7], v[4:5]
	v_mul_f64 v[62:63], v[86:87], s[6:7]
	v_fma_f64 v[66:67], v[14:15], s[6:7], v[82:83]
	v_mul_f64 v[44:45], v[88:89], s[8:9]
	;; [unrolled: 2-line block ×3, first 2 shown]
	v_mul_f64 v[50:51], v[90:91], s[4:5]
	v_mul_f64 v[56:57], v[32:33], s[14:15]
	;; [unrolled: 1-line block ×3, first 2 shown]
	v_add_f64 v[8:9], v[8:9], v[28:29]
	v_add_f64 v[10:11], v[10:11], v[64:65]
	;; [unrolled: 1-line block ×3, first 2 shown]
	v_fma_f64 v[30:31], v[48:49], s[14:15], v[12:13]
	v_fma_f64 v[48:49], v[48:49], s[14:15], v[34:35]
	v_fma_f64 v[64:65], v[32:33], s[4:5], -v[68:69]
	v_fma_f64 v[34:35], v[76:77], s[14:15], v[36:37]
	v_fma_f64 v[36:37], v[58:59], s[14:15], v[40:41]
	;; [unrolled: 1-line block ×5, first 2 shown]
	s_mov_b32 s5, exec_lo
	v_fma_f64 v[46:47], v[46:47], s[8:9], -v[14:15]
	v_fma_f64 v[44:45], v[78:79], s[14:15], v[50:51]
	v_fma_f64 v[50:51], v[88:89], s[16:17], v[62:63]
	;; [unrolled: 1-line block ×5, first 2 shown]
	v_fma_f64 v[56:57], v[42:43], s[0:1], -v[56:57]
	v_fma_f64 v[68:69], v[0:1], s[6:7], -v[72:73]
	v_add_f64 v[0:1], v[54:55], v[10:11]
	v_add_f64 v[2:3], v[8:9], v[28:29]
	v_add_f64 v[4:5], v[54:55], -v[10:11]
	v_add_f64 v[6:7], v[8:9], -v[28:29]
	s_add_u32 s1, s12, 0x18c0
	s_addc_u32 s4, s13, 0
	v_add_f64 v[32:33], v[60:61], v[64:65]
	v_add_f64 v[8:9], v[30:31], v[40:41]
	v_add_f64 v[28:29], v[30:31], -v[40:41]
	v_add_f64 v[40:41], v[48:49], v[46:47]
	v_add_f64 v[12:13], v[34:35], v[44:45]
	;; [unrolled: 1-line block ×3, first 2 shown]
	v_add_f64 v[30:31], v[36:37], -v[50:51]
	v_add_f64 v[14:15], v[62:63], v[66:67]
	v_add_f64 v[36:37], v[34:35], -v[44:45]
	v_add_f64 v[34:35], v[52:53], v[56:57]
	v_add_f64 v[42:43], v[58:59], v[68:69]
	v_add_f64 v[38:39], v[62:63], -v[66:67]
	v_add_f64 v[44:45], v[60:61], -v[64:65]
	;; [unrolled: 1-line block ×5, first 2 shown]
	ds_write_b128 v23, v[0:3]
	ds_write_b128 v23, v[4:7] offset:3200
	ds_write_b128 v23, v[8:11] offset:640
	;; [unrolled: 1-line block ×9, first 2 shown]
	s_waitcnt lgkmcnt(0)
	s_barrier
	buffer_gl0_inv
	ds_read_b128 v[4:7], v27
	v_sub_nc_u32_e32 v14, v26, v19
                                        ; implicit-def: $vgpr0_vgpr1
                                        ; implicit-def: $vgpr10_vgpr11
                                        ; implicit-def: $vgpr12_vgpr13
                                        ; implicit-def: $vgpr8_vgpr9
	v_cmpx_ne_u32_e32 0, v18
	s_xor_b32 s5, exec_lo, s5
	s_cbranch_execz .LBB0_16
; %bb.15:
	v_mov_b32_e32 v19, 0
	v_lshlrev_b64 v[0:1], 4, v[18:19]
	v_add_co_u32 v0, s0, s1, v0
	v_add_co_ci_u32_e64 v1, s0, s4, v1, s0
	global_load_dwordx4 v[8:11], v[0:1], off
	ds_read_b128 v[0:3], v14 offset:6400
	s_waitcnt lgkmcnt(0)
	v_add_f64 v[12:13], v[4:5], -v[0:1]
	v_add_f64 v[28:29], v[6:7], v[2:3]
	v_add_f64 v[2:3], v[6:7], -v[2:3]
	v_add_f64 v[0:1], v[4:5], v[0:1]
	v_mul_f64 v[6:7], v[12:13], 0.5
	v_mul_f64 v[4:5], v[28:29], 0.5
	;; [unrolled: 1-line block ×3, first 2 shown]
	s_waitcnt vmcnt(0)
	v_mul_f64 v[12:13], v[6:7], v[10:11]
	v_fma_f64 v[28:29], v[4:5], v[10:11], v[2:3]
	v_fma_f64 v[2:3], v[4:5], v[10:11], -v[2:3]
	v_fma_f64 v[30:31], v[0:1], 0.5, v[12:13]
	v_fma_f64 v[0:1], v[0:1], 0.5, -v[12:13]
	v_fma_f64 v[12:13], -v[8:9], v[6:7], v[28:29]
	v_fma_f64 v[2:3], -v[8:9], v[6:7], v[2:3]
	v_fma_f64 v[10:11], v[4:5], v[8:9], v[30:31]
	v_fma_f64 v[0:1], -v[4:5], v[8:9], v[0:1]
	v_mov_b32_e32 v8, v18
	v_mov_b32_e32 v9, v19
                                        ; implicit-def: $vgpr4_vgpr5
.LBB0_16:
	s_andn2_saveexec_b32 s0, s5
	s_cbranch_execz .LBB0_18
; %bb.17:
	ds_read_b64 v[28:29], v26 offset:3208
	s_waitcnt lgkmcnt(1)
	v_add_f64 v[10:11], v[4:5], v[6:7]
	v_add_f64 v[0:1], v[4:5], -v[6:7]
	v_mov_b32_e32 v12, 0
	v_mov_b32_e32 v13, 0
	;; [unrolled: 1-line block ×6, first 2 shown]
	s_waitcnt lgkmcnt(0)
	v_xor_b32_e32 v29, 0x80000000, v29
	ds_write_b64 v26, v[28:29] offset:3208
.LBB0_18:
	s_or_b32 exec_lo, exec_lo, s0
	v_mov_b32_e32 v23, 0
	ds_write2_b64 v27, v[10:11], v[12:13] offset1:1
	v_lshlrev_b64 v[12:13], 4, v[8:9]
	v_lshl_add_u32 v15, v22, 4, v26
	ds_write_b128 v14, v[0:3] offset:6400
	s_waitcnt lgkmcnt(2)
	v_lshlrev_b64 v[4:5], 4, v[22:23]
	v_mov_b32_e32 v25, v23
	v_lshl_add_u32 v19, v24, 4, v26
	v_lshlrev_b64 v[28:29], 4, v[24:25]
	v_add_co_u32 v4, s0, s1, v4
	v_add_co_ci_u32_e64 v5, s0, s4, v5, s0
	v_add_co_u32 v28, s0, s1, v28
	global_load_dwordx4 v[4:7], v[4:5], off
	v_add_co_ci_u32_e64 v29, s0, s4, v29, s0
	v_add_co_u32 v12, s0, s1, v12
	v_add_co_ci_u32_e64 v13, s0, s4, v13, s0
	global_load_dwordx4 v[28:31], v[28:29], off
	ds_read_b128 v[0:3], v15
	ds_read_b128 v[8:11], v14 offset:5760
	global_load_dwordx4 v[32:35], v[12:13], off offset:1920
	s_waitcnt lgkmcnt(0)
	v_add_f64 v[36:37], v[0:1], -v[8:9]
	v_add_f64 v[38:39], v[2:3], v[10:11]
	v_add_f64 v[2:3], v[2:3], -v[10:11]
	v_add_f64 v[0:1], v[0:1], v[8:9]
	v_mul_f64 v[10:11], v[36:37], 0.5
	v_mul_f64 v[36:37], v[38:39], 0.5
	;; [unrolled: 1-line block ×3, first 2 shown]
	s_waitcnt vmcnt(2)
	v_mul_f64 v[8:9], v[10:11], v[6:7]
	v_fma_f64 v[38:39], v[36:37], v[6:7], v[2:3]
	v_fma_f64 v[2:3], v[36:37], v[6:7], -v[2:3]
	v_fma_f64 v[6:7], v[0:1], 0.5, v[8:9]
	v_fma_f64 v[0:1], v[0:1], 0.5, -v[8:9]
	v_fma_f64 v[8:9], -v[4:5], v[10:11], v[38:39]
	v_fma_f64 v[2:3], -v[4:5], v[10:11], v[2:3]
	v_fma_f64 v[6:7], v[36:37], v[4:5], v[6:7]
	v_fma_f64 v[0:1], -v[36:37], v[4:5], v[0:1]
	ds_write2_b64 v15, v[6:7], v[8:9] offset1:1
	ds_write_b128 v14, v[0:3] offset:5760
	v_add_co_u32 v8, s0, 0x800, v12
	ds_read_b128 v[0:3], v19
	ds_read_b128 v[4:7], v14 offset:5120
	v_add_co_ci_u32_e64 v9, s0, 0, v13, s0
	global_load_dwordx4 v[8:11], v[8:9], off offset:512
	s_waitcnt lgkmcnt(0)
	v_add_f64 v[12:13], v[0:1], -v[4:5]
	v_add_f64 v[24:25], v[2:3], v[6:7]
	v_add_f64 v[2:3], v[2:3], -v[6:7]
	v_add_f64 v[0:1], v[0:1], v[4:5]
	v_mul_f64 v[6:7], v[12:13], 0.5
	v_mul_f64 v[12:13], v[24:25], 0.5
	;; [unrolled: 1-line block ×3, first 2 shown]
	s_waitcnt vmcnt(2)
	v_mul_f64 v[4:5], v[6:7], v[30:31]
	v_fma_f64 v[24:25], v[12:13], v[30:31], v[2:3]
	v_fma_f64 v[2:3], v[12:13], v[30:31], -v[2:3]
	v_fma_f64 v[30:31], v[0:1], 0.5, v[4:5]
	v_fma_f64 v[0:1], v[0:1], 0.5, -v[4:5]
	v_fma_f64 v[4:5], -v[28:29], v[6:7], v[24:25]
	v_fma_f64 v[2:3], -v[28:29], v[6:7], v[2:3]
	v_fma_f64 v[6:7], v[12:13], v[28:29], v[30:31]
	v_fma_f64 v[0:1], -v[12:13], v[28:29], v[0:1]
	ds_write2_b64 v19, v[6:7], v[4:5] offset1:1
	ds_write_b128 v14, v[0:3] offset:5120
	ds_read_b128 v[0:3], v27 offset:1920
	ds_read_b128 v[4:7], v14 offset:4480
	s_waitcnt lgkmcnt(0)
	v_add_f64 v[12:13], v[0:1], -v[4:5]
	v_add_f64 v[24:25], v[2:3], v[6:7]
	v_add_f64 v[2:3], v[2:3], -v[6:7]
	v_add_f64 v[0:1], v[0:1], v[4:5]
	v_mul_f64 v[6:7], v[12:13], 0.5
	v_mul_f64 v[12:13], v[24:25], 0.5
	;; [unrolled: 1-line block ×3, first 2 shown]
	s_waitcnt vmcnt(1)
	v_mul_f64 v[4:5], v[6:7], v[34:35]
	v_fma_f64 v[24:25], v[12:13], v[34:35], v[2:3]
	v_fma_f64 v[2:3], v[12:13], v[34:35], -v[2:3]
	v_fma_f64 v[28:29], v[0:1], 0.5, v[4:5]
	v_fma_f64 v[0:1], v[0:1], 0.5, -v[4:5]
	v_fma_f64 v[4:5], -v[32:33], v[6:7], v[24:25]
	v_fma_f64 v[2:3], -v[32:33], v[6:7], v[2:3]
	v_fma_f64 v[6:7], v[12:13], v[32:33], v[28:29]
	v_fma_f64 v[0:1], -v[12:13], v[32:33], v[0:1]
	ds_write2_b64 v27, v[6:7], v[4:5] offset0:240 offset1:241
	ds_write_b128 v14, v[0:3] offset:4480
	ds_read_b128 v[0:3], v27 offset:2560
	ds_read_b128 v[4:7], v14 offset:3840
	s_waitcnt lgkmcnt(0)
	v_add_f64 v[12:13], v[0:1], -v[4:5]
	v_add_f64 v[24:25], v[2:3], v[6:7]
	v_add_f64 v[2:3], v[2:3], -v[6:7]
	v_add_f64 v[0:1], v[0:1], v[4:5]
	v_mul_f64 v[6:7], v[12:13], 0.5
	v_mul_f64 v[12:13], v[24:25], 0.5
	;; [unrolled: 1-line block ×3, first 2 shown]
	s_waitcnt vmcnt(0)
	v_mul_f64 v[4:5], v[6:7], v[10:11]
	v_fma_f64 v[24:25], v[12:13], v[10:11], v[2:3]
	v_fma_f64 v[2:3], v[12:13], v[10:11], -v[2:3]
	v_fma_f64 v[10:11], v[0:1], 0.5, v[4:5]
	v_fma_f64 v[0:1], v[0:1], 0.5, -v[4:5]
	v_fma_f64 v[4:5], -v[8:9], v[6:7], v[24:25]
	v_fma_f64 v[2:3], -v[8:9], v[6:7], v[2:3]
	v_fma_f64 v[6:7], v[12:13], v[8:9], v[10:11]
	v_fma_f64 v[0:1], -v[12:13], v[8:9], v[0:1]
	v_add_nc_u32_e32 v8, 0x800, v27
	ds_write2_b64 v8, v[6:7], v[4:5] offset0:64 offset1:65
	ds_write_b128 v14, v[0:3] offset:3840
	s_waitcnt lgkmcnt(0)
	s_barrier
	buffer_gl0_inv
	s_and_saveexec_b32 s0, vcc_lo
	s_cbranch_execz .LBB0_21
; %bb.19:
	v_mul_lo_u32 v0, s3, v20
	v_mul_lo_u32 v3, s2, v21
	v_mad_u64_u32 v[1:2], null, s2, v20, 0
	v_mov_b32_e32 v19, v23
	v_lshlrev_b64 v[11:12], 4, v[16:17]
	v_add_nc_u32_e32 v22, 40, v18
	v_lshlrev_b64 v[13:14], 4, v[18:19]
	v_add3_u32 v2, v2, v3, v0
	v_lshl_add_u32 v0, v18, 4, v26
	v_lshlrev_b64 v[15:16], 4, v[22:23]
	ds_read_b128 v[3:6], v0
	ds_read_b128 v[7:10], v0 offset:640
	v_lshlrev_b64 v[1:2], 4, v[1:2]
	v_add_nc_u32_e32 v22, 0x50, v18
	v_add_co_u32 v1, vcc_lo, s10, v1
	v_add_co_ci_u32_e32 v2, vcc_lo, s11, v2, vcc_lo
	v_add_co_u32 v1, vcc_lo, v1, v11
	v_add_co_ci_u32_e32 v2, vcc_lo, v2, v12, vcc_lo
	;; [unrolled: 2-line block ×4, first 2 shown]
	v_lshlrev_b64 v[15:16], 4, v[22:23]
	v_add_nc_u32_e32 v22, 0x78, v18
	s_waitcnt lgkmcnt(1)
	global_store_dwordx4 v[11:12], v[3:6], off
	s_waitcnt lgkmcnt(0)
	global_store_dwordx4 v[13:14], v[7:10], off
	ds_read_b128 v[3:6], v0 offset:1280
	ds_read_b128 v[7:10], v0 offset:1920
	;; [unrolled: 1-line block ×4, first 2 shown]
	v_lshlrev_b64 v[19:20], 4, v[22:23]
	v_add_nc_u32_e32 v22, 0xa0, v18
	v_add_co_u32 v15, vcc_lo, v1, v15
	v_add_co_ci_u32_e32 v16, vcc_lo, v2, v16, vcc_lo
	v_lshlrev_b64 v[28:29], 4, v[22:23]
	v_add_nc_u32_e32 v22, 0xc8, v18
	v_add_co_u32 v19, vcc_lo, v1, v19
	v_add_co_ci_u32_e32 v20, vcc_lo, v2, v20, vcc_lo
	;; [unrolled: 4-line block ×3, first 2 shown]
	v_add_co_u32 v30, vcc_lo, v1, v30
	s_waitcnt lgkmcnt(3)
	global_store_dwordx4 v[15:16], v[3:6], off
	v_lshlrev_b64 v[3:4], 4, v[22:23]
	v_add_nc_u32_e32 v22, 0x118, v18
	v_add_co_ci_u32_e32 v31, vcc_lo, v2, v31, vcc_lo
	s_waitcnt lgkmcnt(2)
	global_store_dwordx4 v[19:20], v[7:10], off
	s_waitcnt lgkmcnt(1)
	global_store_dwordx4 v[28:29], v[11:14], off
	;; [unrolled: 2-line block ×3, first 2 shown]
	v_lshlrev_b64 v[19:20], 4, v[22:23]
	v_add_nc_u32_e32 v22, 0x140, v18
	v_add_co_u32 v15, vcc_lo, v1, v3
	v_add_co_ci_u32_e32 v16, vcc_lo, v2, v4, vcc_lo
	ds_read_b128 v[3:6], v0 offset:3840
	ds_read_b128 v[7:10], v0 offset:4480
	;; [unrolled: 1-line block ×4, first 2 shown]
	v_lshlrev_b64 v[28:29], 4, v[22:23]
	v_add_nc_u32_e32 v22, 0x168, v18
	v_add_co_u32 v19, vcc_lo, v1, v19
	v_add_co_ci_u32_e32 v20, vcc_lo, v2, v20, vcc_lo
	v_lshlrev_b64 v[21:22], 4, v[22:23]
	v_add_co_u32 v28, vcc_lo, v1, v28
	v_add_co_ci_u32_e32 v29, vcc_lo, v2, v29, vcc_lo
	v_add_co_u32 v21, vcc_lo, v1, v21
	v_add_co_ci_u32_e32 v22, vcc_lo, v2, v22, vcc_lo
	v_cmp_eq_u32_e32 vcc_lo, 39, v18
	s_waitcnt lgkmcnt(3)
	global_store_dwordx4 v[15:16], v[3:6], off
	s_waitcnt lgkmcnt(2)
	global_store_dwordx4 v[19:20], v[7:10], off
	;; [unrolled: 2-line block ×4, first 2 shown]
	s_and_b32 exec_lo, exec_lo, vcc_lo
	s_cbranch_execz .LBB0_21
; %bb.20:
	ds_read_b128 v[3:6], v0 offset:5776
	v_add_co_u32 v0, vcc_lo, 0x1800, v1
	v_add_co_ci_u32_e32 v1, vcc_lo, 0, v2, vcc_lo
	s_waitcnt lgkmcnt(0)
	global_store_dwordx4 v[0:1], v[3:6], off offset:256
.LBB0_21:
	s_endpgm
	.section	.rodata,"a",@progbits
	.p2align	6, 0x0
	.amdhsa_kernel fft_rtc_fwd_len400_factors_4_10_10_wgs_120_tpt_40_halfLds_dp_op_CI_CI_unitstride_sbrr_R2C_dirReg
		.amdhsa_group_segment_fixed_size 0
		.amdhsa_private_segment_fixed_size 0
		.amdhsa_kernarg_size 104
		.amdhsa_user_sgpr_count 6
		.amdhsa_user_sgpr_private_segment_buffer 1
		.amdhsa_user_sgpr_dispatch_ptr 0
		.amdhsa_user_sgpr_queue_ptr 0
		.amdhsa_user_sgpr_kernarg_segment_ptr 1
		.amdhsa_user_sgpr_dispatch_id 0
		.amdhsa_user_sgpr_flat_scratch_init 0
		.amdhsa_user_sgpr_private_segment_size 0
		.amdhsa_wavefront_size32 1
		.amdhsa_uses_dynamic_stack 0
		.amdhsa_system_sgpr_private_segment_wavefront_offset 0
		.amdhsa_system_sgpr_workgroup_id_x 1
		.amdhsa_system_sgpr_workgroup_id_y 0
		.amdhsa_system_sgpr_workgroup_id_z 0
		.amdhsa_system_sgpr_workgroup_info 0
		.amdhsa_system_vgpr_workitem_id 0
		.amdhsa_next_free_vgpr 95
		.amdhsa_next_free_sgpr 27
		.amdhsa_reserve_vcc 1
		.amdhsa_reserve_flat_scratch 0
		.amdhsa_float_round_mode_32 0
		.amdhsa_float_round_mode_16_64 0
		.amdhsa_float_denorm_mode_32 3
		.amdhsa_float_denorm_mode_16_64 3
		.amdhsa_dx10_clamp 1
		.amdhsa_ieee_mode 1
		.amdhsa_fp16_overflow 0
		.amdhsa_workgroup_processor_mode 1
		.amdhsa_memory_ordered 1
		.amdhsa_forward_progress 0
		.amdhsa_shared_vgpr_count 0
		.amdhsa_exception_fp_ieee_invalid_op 0
		.amdhsa_exception_fp_denorm_src 0
		.amdhsa_exception_fp_ieee_div_zero 0
		.amdhsa_exception_fp_ieee_overflow 0
		.amdhsa_exception_fp_ieee_underflow 0
		.amdhsa_exception_fp_ieee_inexact 0
		.amdhsa_exception_int_div_zero 0
	.end_amdhsa_kernel
	.text
.Lfunc_end0:
	.size	fft_rtc_fwd_len400_factors_4_10_10_wgs_120_tpt_40_halfLds_dp_op_CI_CI_unitstride_sbrr_R2C_dirReg, .Lfunc_end0-fft_rtc_fwd_len400_factors_4_10_10_wgs_120_tpt_40_halfLds_dp_op_CI_CI_unitstride_sbrr_R2C_dirReg
                                        ; -- End function
	.section	.AMDGPU.csdata,"",@progbits
; Kernel info:
; codeLenInByte = 7864
; NumSgprs: 29
; NumVgprs: 95
; ScratchSize: 0
; MemoryBound: 0
; FloatMode: 240
; IeeeMode: 1
; LDSByteSize: 0 bytes/workgroup (compile time only)
; SGPRBlocks: 3
; VGPRBlocks: 11
; NumSGPRsForWavesPerEU: 29
; NumVGPRsForWavesPerEU: 95
; Occupancy: 10
; WaveLimiterHint : 1
; COMPUTE_PGM_RSRC2:SCRATCH_EN: 0
; COMPUTE_PGM_RSRC2:USER_SGPR: 6
; COMPUTE_PGM_RSRC2:TRAP_HANDLER: 0
; COMPUTE_PGM_RSRC2:TGID_X_EN: 1
; COMPUTE_PGM_RSRC2:TGID_Y_EN: 0
; COMPUTE_PGM_RSRC2:TGID_Z_EN: 0
; COMPUTE_PGM_RSRC2:TIDIG_COMP_CNT: 0
	.text
	.p2alignl 6, 3214868480
	.fill 48, 4, 3214868480
	.type	__hip_cuid_ef2785445d3913ac,@object ; @__hip_cuid_ef2785445d3913ac
	.section	.bss,"aw",@nobits
	.globl	__hip_cuid_ef2785445d3913ac
__hip_cuid_ef2785445d3913ac:
	.byte	0                               ; 0x0
	.size	__hip_cuid_ef2785445d3913ac, 1

	.ident	"AMD clang version 19.0.0git (https://github.com/RadeonOpenCompute/llvm-project roc-6.4.0 25133 c7fe45cf4b819c5991fe208aaa96edf142730f1d)"
	.section	".note.GNU-stack","",@progbits
	.addrsig
	.addrsig_sym __hip_cuid_ef2785445d3913ac
	.amdgpu_metadata
---
amdhsa.kernels:
  - .args:
      - .actual_access:  read_only
        .address_space:  global
        .offset:         0
        .size:           8
        .value_kind:     global_buffer
      - .offset:         8
        .size:           8
        .value_kind:     by_value
      - .actual_access:  read_only
        .address_space:  global
        .offset:         16
        .size:           8
        .value_kind:     global_buffer
      - .actual_access:  read_only
        .address_space:  global
        .offset:         24
        .size:           8
        .value_kind:     global_buffer
      - .actual_access:  read_only
        .address_space:  global
        .offset:         32
        .size:           8
        .value_kind:     global_buffer
      - .offset:         40
        .size:           8
        .value_kind:     by_value
      - .actual_access:  read_only
        .address_space:  global
        .offset:         48
        .size:           8
        .value_kind:     global_buffer
      - .actual_access:  read_only
        .address_space:  global
        .offset:         56
        .size:           8
        .value_kind:     global_buffer
      - .offset:         64
        .size:           4
        .value_kind:     by_value
      - .actual_access:  read_only
        .address_space:  global
        .offset:         72
        .size:           8
        .value_kind:     global_buffer
      - .actual_access:  read_only
        .address_space:  global
        .offset:         80
        .size:           8
        .value_kind:     global_buffer
      - .actual_access:  read_only
        .address_space:  global
        .offset:         88
        .size:           8
        .value_kind:     global_buffer
      - .actual_access:  write_only
        .address_space:  global
        .offset:         96
        .size:           8
        .value_kind:     global_buffer
    .group_segment_fixed_size: 0
    .kernarg_segment_align: 8
    .kernarg_segment_size: 104
    .language:       OpenCL C
    .language_version:
      - 2
      - 0
    .max_flat_workgroup_size: 120
    .name:           fft_rtc_fwd_len400_factors_4_10_10_wgs_120_tpt_40_halfLds_dp_op_CI_CI_unitstride_sbrr_R2C_dirReg
    .private_segment_fixed_size: 0
    .sgpr_count:     29
    .sgpr_spill_count: 0
    .symbol:         fft_rtc_fwd_len400_factors_4_10_10_wgs_120_tpt_40_halfLds_dp_op_CI_CI_unitstride_sbrr_R2C_dirReg.kd
    .uniform_work_group_size: 1
    .uses_dynamic_stack: false
    .vgpr_count:     95
    .vgpr_spill_count: 0
    .wavefront_size: 32
    .workgroup_processor_mode: 1
amdhsa.target:   amdgcn-amd-amdhsa--gfx1030
amdhsa.version:
  - 1
  - 2
...

	.end_amdgpu_metadata
